;; amdgpu-corpus repo=huggingface/hf-rocm-kernels kind=compiled arch=gfx1100 opt=O3
	.text
	.amdgcn_target "amdgcn-amd-amdhsa--gfx1100"
	.amdhsa_code_object_version 6
	.protected	_Z14_swiglu_scalarPK6__halfPKfPhPS_iii ; -- Begin function _Z14_swiglu_scalarPK6__halfPKfPhPS_iii
	.globl	_Z14_swiglu_scalarPK6__halfPKfPhPS_iii
	.p2align	8
	.type	_Z14_swiglu_scalarPK6__halfPKfPhPS_iii,@function
_Z14_swiglu_scalarPK6__halfPKfPhPS_iii: ; @_Z14_swiglu_scalarPK6__halfPKfPhPS_iii
; %bb.0:
	s_clause 0x1
	s_load_b32 s2, s[0:1], 0x3c
	s_load_b32 s14, s[0:1], 0x30
	s_add_u32 s18, s0, 48
	s_addc_u32 s19, s1, 0
	s_load_b128 s[4:7], s[0:1], 0x20
	s_mov_b32 s12, 0
	s_waitcnt lgkmcnt(0)
	s_and_b32 s13, s2, 0xffff
	s_delay_alu instid0(SALU_CYCLE_1) | instskip(NEXT) | instid1(SALU_CYCLE_1)
	s_mul_i32 s8, s14, s13
	v_cvt_f32_u32_e32 v1, s8
	s_sub_i32 s3, 0, s8
	s_delay_alu instid0(VALU_DEP_1) | instskip(SKIP_2) | instid1(VALU_DEP_1)
	v_rcp_iflag_f32_e32 v1, v1
	s_waitcnt_depctr 0xfff
	v_mul_f32_e32 v1, 0x4f7ffffe, v1
	v_cvt_u32_f32_e32 v1, v1
	s_delay_alu instid0(VALU_DEP_1) | instskip(NEXT) | instid1(VALU_DEP_1)
	v_readfirstlane_b32 s2, v1
	s_mul_i32 s3, s3, s2
	s_delay_alu instid0(SALU_CYCLE_1) | instskip(NEXT) | instid1(SALU_CYCLE_1)
	s_mul_hi_u32 s3, s2, s3
	s_add_i32 s9, s2, s3
	s_load_b64 s[2:3], s[0:1], 0x18
	s_mul_i32 s7, s5, s4
	s_mul_i32 s21, s6, s4
	s_add_i32 s7, s7, s8
	s_delay_alu instid0(SALU_CYCLE_1) | instskip(NEXT) | instid1(SALU_CYCLE_1)
	s_add_i32 s7, s7, -1
	s_mul_hi_u32 s9, s7, s9
	s_delay_alu instid0(SALU_CYCLE_1) | instskip(NEXT) | instid1(SALU_CYCLE_1)
	s_mul_i32 s10, s9, s8
	s_sub_i32 s7, s7, s10
	s_add_i32 s10, s9, 1
	s_sub_i32 s11, s7, s8
	s_cmp_ge_u32 s7, s8
	s_cselect_b32 s9, s10, s9
	s_cselect_b32 s7, s11, s7
	s_add_i32 s10, s9, 1
	s_cmp_ge_u32 s7, s8
	s_mov_b32 s7, -1
	s_cselect_b32 s20, s10, s9
                                        ; implicit-def: $sgpr8
                                        ; implicit-def: $sgpr9
	s_delay_alu instid0(SALU_CYCLE_1)
	s_cmp_gt_i32 s20, 0
	s_cbranch_scc0 .LBB0_3
; %bb.1:
	v_mov_b32_e32 v1, s8
	v_mov_b32_e32 v3, s9
	s_and_not1_b32 vcc_lo, exec_lo, s7
	s_cbranch_vccz .LBB0_4
.LBB0_2:
	s_and_saveexec_b32 s0, s12
	s_cbranch_execnz .LBB0_32
	s_branch .LBB0_40
.LBB0_3:
	s_mul_i32 s8, s6, s4
	s_mov_b32 s12, -1
	s_add_i32 s9, s8, -1
	v_mov_b32_e32 v1, s8
	v_mov_b32_e32 v3, s9
	s_cbranch_execnz .LBB0_2
.LBB0_4:
	s_clause 0x1
	s_load_b128 s[8:11], s[0:1], 0x0
	s_load_b64 s[6:7], s[0:1], 0x10
	s_cmp_lt_u32 s15, s14
	s_mov_b32 s12, s5
	s_cselect_b32 s1, 12, 18
	s_mov_b32 s23, 0
	s_mov_b32 s26, 0xbfb8aa3b
	;; [unrolled: 1-line block ×4, first 2 shown]
	s_waitcnt lgkmcnt(0)
	s_load_b32 s0, s[10:11], 0x0
	s_add_u32 s10, s18, s1
	s_addc_u32 s11, s19, 0
	s_abs_i32 s22, s5
	s_add_i32 s24, s21, -1
	v_cvt_f32_u32_e32 v1, s22
	s_sub_i32 s1, 0, s22
	s_lshl_b32 s25, s5, 1
	s_delay_alu instid0(VALU_DEP_1)
	v_rcp_iflag_f32_e32 v1, v1
	s_waitcnt lgkmcnt(0)
	v_div_scale_f32 v3, null, s0, s0, 1.0
	v_div_scale_f32 v5, vcc_lo, 1.0, s0, 1.0
	s_waitcnt_depctr 0xfff
	v_mul_f32_e32 v1, 0x4f7ffffe, v1
	v_rcp_f32_e32 v4, v3
	s_delay_alu instid0(VALU_DEP_1) | instskip(NEXT) | instid1(VALU_DEP_1)
	v_cvt_u32_f32_e32 v7, v1
	v_mul_lo_u32 v8, s1, v7
	s_waitcnt_depctr 0xfff
	v_fma_f32 v2, -v3, v4, 1.0
	s_delay_alu instid0(VALU_DEP_1) | instskip(NEXT) | instid1(VALU_DEP_1)
	v_fmac_f32_e32 v4, v2, v4
	v_mul_f32_e32 v6, v5, v4
	s_delay_alu instid0(VALU_DEP_1) | instskip(NEXT) | instid1(VALU_DEP_1)
	v_fma_f32 v1, -v3, v6, v5
	v_fmac_f32_e32 v6, v1, v4
	v_mad_u64_u32 v[1:2], null, s15, s13, v[0:1]
	v_mov_b32_e32 v2, 0
	s_ashr_i32 s13, s5, 31
	s_delay_alu instid0(VALU_DEP_3) | instskip(SKIP_2) | instid1(VALU_DEP_4)
	v_fma_f32 v3, -v3, v6, v5
	v_mul_hi_u32 v5, v7, v8
	s_lshl_b64 s[16:17], s[12:13], 1
                                        ; implicit-def: $sgpr12
	v_mul_lo_u32 v9, v1, s20
	s_delay_alu instid0(VALU_DEP_3) | instskip(NEXT) | instid1(VALU_DEP_3)
	v_div_fmas_f32 v3, v3, v4, v6
	v_add_nc_u32_e32 v10, v7, v5
	s_delay_alu instid0(VALU_DEP_2)
	v_div_fixup_f32 v11, v3, s0, 1.0
	s_branch .LBB0_6
.LBB0_5:                                ;   in Loop: Header=BB0_6 Depth=1
	s_or_b32 exec_lo, exec_lo, s30
	s_xor_b32 s0, s29, -1
	s_and_b32 s1, exec_lo, s1
	v_mov_b32_e32 v3, s24
	s_or_b32 s23, s1, s23
	v_mov_b32_e32 v1, s21
	s_and_not1_b32 s1, s12, exec_lo
	s_and_b32 s0, s0, exec_lo
	s_delay_alu instid0(SALU_CYCLE_1)
	s_or_b32 s12, s1, s0
	s_and_not1_b32 exec_lo, exec_lo, s23
	s_cbranch_execz .LBB0_31
.LBB0_6:                                ; =>This Loop Header: Depth=1
                                        ;     Child Loop BB0_10 Depth 2
                                        ;     Child Loop BB0_14 Depth 2
	s_delay_alu instid0(VALU_DEP_4) | instskip(SKIP_1) | instid1(VALU_DEP_1)
	v_add_nc_u32_e32 v1, s28, v9
	s_mov_b32 s1, exec_lo
	v_sub_nc_u32_e32 v3, 0, v1
	s_delay_alu instid0(VALU_DEP_1) | instskip(NEXT) | instid1(VALU_DEP_1)
	v_max_i32_e32 v3, v1, v3
	v_mul_hi_u32 v4, v3, v10
	s_delay_alu instid0(VALU_DEP_1) | instskip(NEXT) | instid1(VALU_DEP_1)
	v_mul_lo_u32 v5, v4, s22
	v_sub_nc_u32_e32 v3, v3, v5
	v_add_nc_u32_e32 v5, 1, v4
	s_delay_alu instid0(VALU_DEP_2) | instskip(SKIP_1) | instid1(VALU_DEP_2)
	v_subrev_nc_u32_e32 v6, s22, v3
	v_cmp_le_u32_e32 vcc_lo, s22, v3
	v_dual_cndmask_b32 v4, v4, v5 :: v_dual_cndmask_b32 v3, v3, v6
	v_ashrrev_i32_e32 v5, 31, v1
	s_delay_alu instid0(VALU_DEP_2) | instskip(NEXT) | instid1(VALU_DEP_3)
	v_add_nc_u32_e32 v6, 1, v4
	v_cmp_le_u32_e32 vcc_lo, s22, v3
	s_delay_alu instid0(VALU_DEP_3) | instskip(NEXT) | instid1(VALU_DEP_3)
	v_xor_b32_e32 v5, s13, v5
	v_cndmask_b32_e32 v3, v4, v6, vcc_lo
	s_delay_alu instid0(VALU_DEP_1) | instskip(NEXT) | instid1(VALU_DEP_1)
	v_xor_b32_e32 v3, v3, v5
	v_sub_nc_u32_e32 v5, v3, v5
	s_delay_alu instid0(VALU_DEP_1)
	v_cmp_gt_i32_e64 s0, s4, v5
	v_cmpx_le_i32_e64 s4, v5
	s_xor_b32 s1, exec_lo, s1
	s_cbranch_execz .LBB0_15
; %bb.7:                                ;   in Loop: Header=BB0_6 Depth=1
	global_load_u16 v3, v2, s[10:11]
                                        ; implicit-def: $vgpr5
	s_waitcnt vmcnt(0)
	v_readfirstlane_b32 s29, v3
	s_delay_alu instid0(VALU_DEP_1) | instskip(NEXT) | instid1(SALU_CYCLE_1)
	s_mul_i32 s29, s14, s29
	v_cvt_f32_u32_e32 v1, s29
	s_sub_i32 s31, 0, s29
	s_add_i32 s33, s24, s29
	s_delay_alu instid0(VALU_DEP_1) | instskip(SKIP_2) | instid1(VALU_DEP_1)
	v_rcp_iflag_f32_e32 v1, v1
	s_waitcnt_depctr 0xfff
	v_mul_f32_e32 v1, 0x4f7ffffe, v1
	v_cvt_u32_f32_e32 v1, v1
	s_delay_alu instid0(VALU_DEP_1) | instskip(NEXT) | instid1(VALU_DEP_1)
	v_readfirstlane_b32 s30, v1
                                        ; implicit-def: $vgpr1
	s_mul_i32 s31, s31, s30
	s_delay_alu instid0(SALU_CYCLE_1) | instskip(NEXT) | instid1(SALU_CYCLE_1)
	s_mul_hi_u32 s31, s30, s31
	s_add_i32 s30, s30, s31
	s_delay_alu instid0(SALU_CYCLE_1) | instskip(NEXT) | instid1(SALU_CYCLE_1)
	s_mul_hi_u32 s30, s33, s30
	s_mul_i32 s31, s30, s29
	s_delay_alu instid0(SALU_CYCLE_1)
	s_sub_i32 s31, s33, s31
	s_add_i32 s33, s30, 1
	s_sub_i32 s34, s31, s29
	s_cmp_ge_u32 s31, s29
	s_cselect_b32 s30, s33, s30
	s_cselect_b32 s31, s34, s31
	s_add_i32 s33, s30, 1
	s_cmp_ge_u32 s31, s29
	s_cselect_b32 s29, s33, s30
	s_delay_alu instid0(SALU_CYCLE_1)
	s_cmp_lt_i32 s29, 1
	s_cbranch_scc1 .LBB0_15
; %bb.8:                                ;   in Loop: Header=BB0_6 Depth=1
	v_mad_u64_u32 v[4:5], null, s15, v3, v[0:1]
	s_sub_i32 s30, s21, s29
	s_cmp_eq_u32 s29, 1
	s_delay_alu instid0(VALU_DEP_1) | instskip(NEXT) | instid1(VALU_DEP_1)
	v_mul_lo_u32 v1, v4, s29
	v_min_i32_e32 v3, s30, v1
	s_delay_alu instid0(VALU_DEP_1) | instskip(NEXT) | instid1(VALU_DEP_1)
	v_ashrrev_i32_e32 v4, 31, v3
	v_lshlrev_b64 v[3:4], 1, v[3:4]
	s_cbranch_scc1 .LBB0_12
; %bb.9:                                ;   in Loop: Header=BB0_6 Depth=1
	s_delay_alu instid0(VALU_DEP_1) | instskip(NEXT) | instid1(VALU_DEP_2)
	v_add_co_u32 v5, vcc_lo, s2, v3
	v_add_co_ci_u32_e32 v6, vcc_lo, s3, v4, vcc_lo
	s_and_b32 s30, s29, 0x7ffffffe
	s_delay_alu instid0(SALU_CYCLE_1)
	s_mov_b32 s31, s30
.LBB0_10:                               ;   Parent Loop BB0_6 Depth=1
                                        ; =>  This Inner Loop Header: Depth=2
	global_store_b32 v[5:6], v2, off
	v_add_co_u32 v5, vcc_lo, v5, 4
	v_add_co_ci_u32_e32 v6, vcc_lo, 0, v6, vcc_lo
	s_add_i32 s31, s31, -2
	s_delay_alu instid0(SALU_CYCLE_1)
	s_cmp_lg_u32 s31, 0
	s_cbranch_scc1 .LBB0_10
; %bb.11:                               ;   in Loop: Header=BB0_6 Depth=1
	s_cmp_lg_u32 s29, s30
	s_cselect_b32 s31, -1, 0
	s_delay_alu instid0(SALU_CYCLE_1)
	s_and_b32 vcc_lo, exec_lo, s31
                                        ; implicit-def: $vgpr5
                                        ; implicit-def: $vgpr1
	s_cbranch_vccnz .LBB0_13
	s_branch .LBB0_15
.LBB0_12:                               ;   in Loop: Header=BB0_6 Depth=1
	s_mov_b32 s30, 0
                                        ; implicit-def: $vgpr5
                                        ; implicit-def: $vgpr1
	s_cbranch_execz .LBB0_15
.LBB0_13:                               ;   in Loop: Header=BB0_6 Depth=1
	s_lshl_b32 s31, s30, 1
	s_delay_alu instid0(SALU_CYCLE_1)
	s_add_u32 s31, s2, s31
	s_addc_u32 s33, s3, 0
	v_add_co_u32 v3, vcc_lo, s31, v3
	v_add_co_ci_u32_e32 v4, vcc_lo, s33, v4, vcc_lo
.LBB0_14:                               ;   Parent Loop BB0_6 Depth=1
                                        ; =>  This Inner Loop Header: Depth=2
	global_store_b16 v[3:4], v2, off
	v_add_co_u32 v3, vcc_lo, v3, 2
	v_add_co_ci_u32_e32 v4, vcc_lo, 0, v4, vcc_lo
	s_add_i32 s30, s30, 1
                                        ; implicit-def: $vgpr5
                                        ; implicit-def: $vgpr1
	s_delay_alu instid0(SALU_CYCLE_1)
	s_cmp_ge_i32 s30, s29
	s_cbranch_scc0 .LBB0_14
.LBB0_15:                               ;   in Loop: Header=BB0_6 Depth=1
	s_and_not1_saveexec_b32 s29, s1
	s_cbranch_execz .LBB0_29
; %bb.16:                               ;   in Loop: Header=BB0_6 Depth=1
	v_mul_lo_u32 v12, v5, s5
	v_mul_lo_u32 v5, s25, v5
	s_mov_b32 s1, exec_lo
	s_delay_alu instid0(VALU_DEP_2) | instskip(NEXT) | instid1(VALU_DEP_2)
	v_sub_nc_u32_e32 v3, v1, v12
	v_ashrrev_i32_e32 v6, 31, v5
	s_delay_alu instid0(VALU_DEP_2) | instskip(NEXT) | instid1(VALU_DEP_2)
	v_ashrrev_i32_e32 v4, 31, v3
	v_lshlrev_b64 v[5:6], 1, v[5:6]
	s_delay_alu instid0(VALU_DEP_2) | instskip(NEXT) | instid1(VALU_DEP_2)
	v_lshlrev_b64 v[7:8], 1, v[3:4]
	v_add_co_u32 v1, vcc_lo, s8, v5
	s_delay_alu instid0(VALU_DEP_3) | instskip(NEXT) | instid1(VALU_DEP_2)
	v_add_co_ci_u32_e32 v6, vcc_lo, s9, v6, vcc_lo
	v_add_co_u32 v5, vcc_lo, v1, v7
	s_delay_alu instid0(VALU_DEP_2)
	v_add_co_ci_u32_e32 v6, vcc_lo, v6, v8, vcc_lo
	global_load_u16 v1, v[5:6], off
	v_add_co_u32 v5, vcc_lo, v5, s16
	v_add_co_ci_u32_e32 v6, vcc_lo, s17, v6, vcc_lo
	global_load_u16 v5, v[5:6], off
	s_waitcnt vmcnt(1)
	v_cvt_f32_f16_e32 v6, v1
	s_delay_alu instid0(VALU_DEP_1) | instskip(SKIP_2) | instid1(VALU_DEP_2)
	v_mul_f32_e32 v7, 0xbfb8aa3b, v6
	s_waitcnt vmcnt(0)
	v_cvt_f32_f16_e32 v5, v5
	v_cmp_gt_f32_e32 vcc_lo, 0xc2fc0000, v7
	v_cndmask_b32_e64 v7, 0, 0x42800000, vcc_lo
	s_delay_alu instid0(VALU_DEP_1) | instskip(SKIP_1) | instid1(VALU_DEP_2)
	v_fma_mix_f32 v1, v1, s26, v7 op_sel_hi:[1,0,0]
	v_cndmask_b32_e64 v7, 1.0, 0x1f800000, vcc_lo
	v_exp_f32_e32 v1, v1
	s_waitcnt_depctr 0xfff
	v_fma_f32 v1, v1, v7, 1.0
	s_delay_alu instid0(VALU_DEP_1) | instskip(NEXT) | instid1(VALU_DEP_1)
	v_div_scale_f32 v7, null, v1, v1, v6
	v_rcp_f32_e32 v8, v7
	s_waitcnt_depctr 0xfff
	v_fma_f32 v13, -v7, v8, 1.0
	s_delay_alu instid0(VALU_DEP_1) | instskip(SKIP_1) | instid1(VALU_DEP_1)
	v_fmac_f32_e32 v8, v13, v8
	v_div_scale_f32 v13, vcc_lo, v6, v1, v6
	v_mul_f32_e32 v14, v13, v8
	s_delay_alu instid0(VALU_DEP_1) | instskip(NEXT) | instid1(VALU_DEP_1)
	v_fma_f32 v15, -v7, v14, v13
	v_fmac_f32_e32 v14, v15, v8
	s_delay_alu instid0(VALU_DEP_1) | instskip(NEXT) | instid1(VALU_DEP_1)
	v_fma_f32 v7, -v7, v14, v13
	v_div_fmas_f32 v7, v7, v8, v14
	s_delay_alu instid0(VALU_DEP_1) | instskip(NEXT) | instid1(VALU_DEP_1)
	v_div_fixup_f32 v1, v7, v1, v6
	v_mul_f32_e32 v1, v1, v5
	s_delay_alu instid0(VALU_DEP_1) | instskip(NEXT) | instid1(VALU_DEP_1)
	v_mul_f32_e32 v1, v11, v1
	v_med3_f32 v6, v1, s27, 0xc3e00000
	s_delay_alu instid0(VALU_DEP_1) | instskip(SKIP_1) | instid1(VALU_DEP_2)
	v_lshrrev_b32_e32 v13, 24, v6
	v_and_b32_e32 v1, 0x7f800000, v6
	v_or_b32_e32 v5, 0x7f, v13
	s_delay_alu instid0(VALU_DEP_2)
	v_cmpx_ne_u64_e32 0x7f800000, v[1:2]
	s_xor_b32 s30, exec_lo, s1
	s_cbranch_execz .LBB0_28
; %bb.17:                               ;   in Loop: Header=BB0_6 Depth=1
	v_and_b32_e32 v1, 0x7fffffff, v6
	s_mov_b32 s1, exec_lo
	s_delay_alu instid0(VALU_DEP_1)
	v_cmpx_gt_u64_e32 0x43700001, v[1:2]
	s_xor_b32 s31, exec_lo, s1
	s_cbranch_execz .LBB0_27
; %bb.18:                               ;   in Loop: Header=BB0_6 Depth=1
	v_mov_b32_e32 v5, 0
	s_mov_b32 s33, exec_lo
	v_cmpx_ne_u32_e32 0, v6
	s_cbranch_execz .LBB0_26
; %bb.19:                               ;   in Loop: Header=BB0_6 Depth=1
	v_bfe_u32 v14, v6, 23, 8
	v_mov_b32_e32 v8, v2
	s_delay_alu instid0(VALU_DEP_2) | instskip(SKIP_1) | instid1(VALU_DEP_2)
	v_sub_nc_u32_e32 v1, 0x78, v14
	v_cmp_gt_u32_e32 vcc_lo, 0x79, v14
	v_cndmask_b32_e32 v1, 0, v1, vcc_lo
	v_cmp_eq_u32_e32 vcc_lo, 0, v14
	s_delay_alu instid0(VALU_DEP_2) | instskip(SKIP_1) | instid1(VALU_DEP_2)
	v_cndmask_b32_e64 v15, v1, 0x77, vcc_lo
	v_and_b32_e32 v1, 0x7fffff, v6
	v_add_nc_u32_e32 v5, 20, v15
	s_delay_alu instid0(VALU_DEP_2) | instskip(NEXT) | instid1(VALU_DEP_2)
	v_or_b32_e32 v7, 0x800000, v1
	v_lshlrev_b64 v[5:6], v5, -1
	s_delay_alu instid0(VALU_DEP_2) | instskip(NEXT) | instid1(VALU_DEP_2)
	v_dual_cndmask_b32 v1, v7, v1 :: v_dual_add_nc_u32 v6, 19, v15
	v_not_b32_e32 v5, v5
	s_delay_alu instid0(VALU_DEP_2) | instskip(NEXT) | instid1(VALU_DEP_2)
	v_lshlrev_b64 v[16:17], v6, 1
	v_and_b32_e32 v7, v1, v5
	v_lshrrev_b64 v[5:6], v15, v[1:2]
	s_delay_alu instid0(VALU_DEP_2) | instskip(NEXT) | instid1(VALU_DEP_2)
	v_cmp_eq_u64_e64 s1, v[7:8], v[16:17]
	v_dual_mov_b32 v8, v6 :: v_dual_mov_b32 v7, v5
	s_delay_alu instid0(VALU_DEP_2)
	s_and_saveexec_b32 s34, s1
; %bb.20:                               ;   in Loop: Header=BB0_6 Depth=1
	v_bfe_u32 v1, v5, 20, 1
	s_delay_alu instid0(VALU_DEP_1) | instskip(NEXT) | instid1(VALU_DEP_1)
	v_add_co_u32 v1, s1, v5, v1
	v_add_co_u32 v7, s1, v1, -1
; %bb.21:                               ;   in Loop: Header=BB0_6 Depth=1
	s_or_b32 exec_lo, exec_lo, s34
	v_add_nc_u32_e32 v1, 0xffffff81, v14
	v_lshrrev_b32_e32 v8, 23, v5
	s_mov_b32 s1, exec_lo
	s_delay_alu instid0(VALU_DEP_2) | instskip(NEXT) | instid1(VALU_DEP_1)
	v_cndmask_b32_e64 v1, v1, 0xffffff82, vcc_lo
	v_add3_u32 v8, v15, v1, v8
	v_and_b32_e32 v1, 0xfffff, v7
	s_delay_alu instid0(VALU_DEP_2) | instskip(NEXT) | instid1(VALU_DEP_2)
	v_add_nc_u32_e32 v7, 7, v8
	v_add_co_u32 v5, vcc_lo, v1, v5
	v_add_co_ci_u32_e32 v6, vcc_lo, 0, v6, vcc_lo
                                        ; implicit-def: $vgpr1
	s_delay_alu instid0(VALU_DEP_3)
	v_cmpx_ne_u32_e32 0, v7
	s_xor_b32 s1, exec_lo, s1
; %bb.22:                               ;   in Loop: Header=BB0_6 Depth=1
	s_delay_alu instid0(VALU_DEP_2) | instskip(SKIP_1) | instid1(VALU_DEP_1)
	v_cmp_lt_u64_e32 vcc_lo, 0xffffff, v[5:6]
	v_add_nc_u32_e32 v1, 8, v8
	v_cndmask_b32_e32 v1, v7, v1, vcc_lo
	v_cndmask_b32_e64 v7, 0, 1, vcc_lo
	s_delay_alu instid0(VALU_DEP_1)
	v_lshrrev_b64 v[5:6], v7, v[5:6]
; %bb.23:                               ;   in Loop: Header=BB0_6 Depth=1
	s_and_not1_saveexec_b32 s1, s1
; %bb.24:                               ;   in Loop: Header=BB0_6 Depth=1
	s_delay_alu instid0(VALU_DEP_1)
	v_bfe_u32 v1, v5, 23, 1
; %bb.25:                               ;   in Loop: Header=BB0_6 Depth=1
	s_or_b32 exec_lo, exec_lo, s1
	s_delay_alu instid0(VALU_DEP_2) | instskip(NEXT) | instid1(VALU_DEP_2)
	v_lshrrev_b64 v[5:6], 20, v[5:6]
	v_cmp_gt_i32_e32 vcc_lo, 16, v1
	v_and_b32_e32 v7, 0x80, v13
	v_min_i32_e32 v8, 15, v1
	v_cmp_eq_u32_e64 s1, 0, v1
	v_dual_cndmask_b32 v6, 0, v6 :: v_dual_cndmask_b32 v5, 7, v5
	s_delay_alu instid0(VALU_DEP_3) | instskip(NEXT) | instid1(VALU_DEP_2)
	v_lshl_or_b32 v7, v8, 3, v7
	v_cmp_eq_u64_e32 vcc_lo, 0, v[5:6]
	s_delay_alu instid0(VALU_DEP_2)
	v_and_or_b32 v1, v5, 7, v7
	s_and_b32 s1, s1, vcc_lo
	s_delay_alu instid0(VALU_DEP_1) | instid1(SALU_CYCLE_1)
	v_cndmask_b32_e64 v5, v1, 0, s1
.LBB0_26:                               ;   in Loop: Header=BB0_6 Depth=1
	s_or_b32 exec_lo, exec_lo, s33
.LBB0_27:                               ;   in Loop: Header=BB0_6 Depth=1
	s_and_not1_saveexec_b32 s1, s31
	s_delay_alu instid0(SALU_CYCLE_1)
	s_or_b32 exec_lo, exec_lo, s1
.LBB0_28:                               ;   in Loop: Header=BB0_6 Depth=1
	s_and_not1_saveexec_b32 s1, s30
	s_delay_alu instid0(SALU_CYCLE_1) | instskip(SKIP_2) | instid1(VALU_DEP_2)
	s_or_b32 exec_lo, exec_lo, s1
	v_ashrrev_i32_e32 v1, 31, v12
	v_add_co_u32 v6, vcc_lo, s6, v12
	v_add_co_ci_u32_e32 v1, vcc_lo, s7, v1, vcc_lo
	s_delay_alu instid0(VALU_DEP_2) | instskip(NEXT) | instid1(VALU_DEP_2)
	v_add_co_u32 v3, vcc_lo, v6, v3
	v_add_co_ci_u32_e32 v4, vcc_lo, v1, v4, vcc_lo
	global_store_b8 v[3:4], v5, off
.LBB0_29:                               ;   in Loop: Header=BB0_6 Depth=1
	s_or_b32 exec_lo, exec_lo, s29
	s_mov_b32 s1, -1
	s_mov_b32 s29, -1
	s_and_saveexec_b32 s30, s0
	s_cbranch_execz .LBB0_5
; %bb.30:                               ;   in Loop: Header=BB0_6 Depth=1
	s_add_i32 s28, s28, 1
	s_delay_alu instid0(SALU_CYCLE_1)
	s_cmp_ge_i32 s28, s20
	s_cselect_b32 s0, -1, 0
	s_xor_b32 s29, exec_lo, -1
	s_or_not1_b32 s1, s0, exec_lo
	s_branch .LBB0_5
.LBB0_31:
	s_or_b32 exec_lo, exec_lo, s23
	s_and_saveexec_b32 s0, s12
	s_cbranch_execz .LBB0_40
.LBB0_32:
	s_cmp_lt_u32 s15, s14
	v_mov_b32_e32 v4, 0
	s_cselect_b32 s0, 12, 18
	s_delay_alu instid0(SALU_CYCLE_1) | instskip(SKIP_4) | instid1(VALU_DEP_1)
	s_add_u32 s0, s18, s0
	s_addc_u32 s1, s19, 0
	global_load_u16 v2, v4, s[0:1]
	s_waitcnt vmcnt(0)
	v_mul_lo_u32 v5, s14, v2
	v_add_nc_u32_e32 v3, v3, v5
	v_cvt_f32_u32_e32 v6, v5
	v_sub_nc_u32_e32 v7, 0, v5
	s_delay_alu instid0(VALU_DEP_2) | instskip(SKIP_2) | instid1(VALU_DEP_1)
	v_rcp_iflag_f32_e32 v6, v6
	s_waitcnt_depctr 0xfff
	v_mul_f32_e32 v6, 0x4f7ffffe, v6
	v_cvt_u32_f32_e32 v6, v6
	s_delay_alu instid0(VALU_DEP_1) | instskip(NEXT) | instid1(VALU_DEP_1)
	v_mul_lo_u32 v7, v7, v6
	v_mul_hi_u32 v7, v6, v7
	s_delay_alu instid0(VALU_DEP_1) | instskip(NEXT) | instid1(VALU_DEP_1)
	v_add_nc_u32_e32 v6, v6, v7
	v_mul_hi_u32 v6, v3, v6
	s_delay_alu instid0(VALU_DEP_1) | instskip(NEXT) | instid1(VALU_DEP_1)
	v_mul_lo_u32 v7, v6, v5
	v_sub_nc_u32_e32 v3, v3, v7
	v_add_nc_u32_e32 v7, 1, v6
	s_delay_alu instid0(VALU_DEP_2) | instskip(SKIP_1) | instid1(VALU_DEP_2)
	v_sub_nc_u32_e32 v8, v3, v5
	v_cmp_ge_u32_e32 vcc_lo, v3, v5
	v_dual_cndmask_b32 v3, v3, v8 :: v_dual_cndmask_b32 v6, v6, v7
	s_delay_alu instid0(VALU_DEP_1) | instskip(NEXT) | instid1(VALU_DEP_2)
	v_cmp_ge_u32_e32 vcc_lo, v3, v5
	v_add_nc_u32_e32 v7, 1, v6
	s_delay_alu instid0(VALU_DEP_1) | instskip(NEXT) | instid1(VALU_DEP_1)
	v_cndmask_b32_e32 v5, v6, v7, vcc_lo
	v_cmp_lt_i32_e32 vcc_lo, 0, v5
	s_and_b32 exec_lo, exec_lo, vcc_lo
	s_cbranch_execz .LBB0_40
; %bb.33:
	v_mad_u64_u32 v[6:7], null, s15, v2, v[0:1]
	v_sub_nc_u32_e32 v1, v1, v5
	s_mov_b32 s0, -1
	s_mov_b32 s1, exec_lo
	s_delay_alu instid0(VALU_DEP_2) | instskip(NEXT) | instid1(VALU_DEP_1)
	v_mul_lo_u32 v0, v6, v5
	v_min_i32_e32 v0, v0, v1
	s_delay_alu instid0(VALU_DEP_1)
	v_ashrrev_i32_e32 v1, 31, v0
	v_cmpx_ne_u32_e32 1, v5
	s_cbranch_execz .LBB0_37
; %bb.34:
	s_delay_alu instid0(VALU_DEP_2) | instskip(SKIP_3) | instid1(VALU_DEP_2)
	v_lshlrev_b64 v[2:3], 1, v[0:1]
	v_and_b32_e32 v4, 0x7ffffffe, v5
	v_mov_b32_e32 v6, 0
	s_mov_b32 s4, 0
	v_mov_b32_e32 v7, v4
	s_waitcnt lgkmcnt(0)
	v_add_co_u32 v2, vcc_lo, s2, v2
	v_add_co_ci_u32_e32 v3, vcc_lo, s3, v3, vcc_lo
.LBB0_35:                               ; =>This Inner Loop Header: Depth=1
	s_delay_alu instid0(VALU_DEP_3) | instskip(SKIP_2) | instid1(VALU_DEP_1)
	v_add_nc_u32_e32 v7, -2, v7
	global_store_b32 v[2:3], v6, off
	v_add_co_u32 v2, s0, v2, 4
	v_add_co_ci_u32_e64 v3, s0, 0, v3, s0
	v_cmp_eq_u32_e32 vcc_lo, 0, v7
	s_or_b32 s4, vcc_lo, s4
	s_delay_alu instid0(SALU_CYCLE_1)
	s_and_not1_b32 exec_lo, exec_lo, s4
	s_cbranch_execnz .LBB0_35
; %bb.36:
	s_or_b32 exec_lo, exec_lo, s4
	v_cmp_ne_u32_e32 vcc_lo, v5, v4
	s_or_not1_b32 s0, vcc_lo, exec_lo
.LBB0_37:
	s_or_b32 exec_lo, exec_lo, s1
	s_delay_alu instid0(SALU_CYCLE_1)
	s_and_b32 exec_lo, exec_lo, s0
	s_cbranch_execz .LBB0_40
; %bb.38:
	v_lshlrev_b64 v[0:1], 1, v[0:1]
	v_lshlrev_b32_e32 v2, 1, v4
	s_mov_b32 s1, 0
	s_delay_alu instid0(VALU_DEP_1) | instskip(NEXT) | instid1(VALU_DEP_3)
	v_add_co_u32 v0, vcc_lo, v0, v2
	v_add_co_ci_u32_e32 v1, vcc_lo, 0, v1, vcc_lo
	v_mov_b32_e32 v2, 0
	s_waitcnt lgkmcnt(0)
	s_delay_alu instid0(VALU_DEP_3) | instskip(NEXT) | instid1(VALU_DEP_3)
	v_add_co_u32 v0, vcc_lo, s2, v0
	v_add_co_ci_u32_e32 v1, vcc_lo, s3, v1, vcc_lo
.LBB0_39:                               ; =>This Inner Loop Header: Depth=1
	v_add_nc_u32_e32 v4, 1, v4
	global_store_b16 v[0:1], v2, off
	v_add_co_u32 v0, s0, v0, 2
	s_delay_alu instid0(VALU_DEP_1) | instskip(SKIP_2) | instid1(SALU_CYCLE_1)
	v_add_co_ci_u32_e64 v1, s0, 0, v1, s0
	v_cmp_ge_i32_e32 vcc_lo, v4, v5
	s_or_b32 s1, vcc_lo, s1
	s_and_not1_b32 exec_lo, exec_lo, s1
	s_cbranch_execnz .LBB0_39
.LBB0_40:
	s_nop 0
	s_sendmsg sendmsg(MSG_DEALLOC_VGPRS)
	s_endpgm
	.section	.rodata,"a",@progbits
	.p2align	6, 0x0
	.amdhsa_kernel _Z14_swiglu_scalarPK6__halfPKfPhPS_iii
		.amdhsa_group_segment_fixed_size 0
		.amdhsa_private_segment_fixed_size 0
		.amdhsa_kernarg_size 304
		.amdhsa_user_sgpr_count 15
		.amdhsa_user_sgpr_dispatch_ptr 0
		.amdhsa_user_sgpr_queue_ptr 0
		.amdhsa_user_sgpr_kernarg_segment_ptr 1
		.amdhsa_user_sgpr_dispatch_id 0
		.amdhsa_user_sgpr_private_segment_size 0
		.amdhsa_wavefront_size32 1
		.amdhsa_uses_dynamic_stack 0
		.amdhsa_enable_private_segment 0
		.amdhsa_system_sgpr_workgroup_id_x 1
		.amdhsa_system_sgpr_workgroup_id_y 0
		.amdhsa_system_sgpr_workgroup_id_z 0
		.amdhsa_system_sgpr_workgroup_info 0
		.amdhsa_system_vgpr_workitem_id 0
		.amdhsa_next_free_vgpr 18
		.amdhsa_next_free_sgpr 35
		.amdhsa_reserve_vcc 1
		.amdhsa_float_round_mode_32 0
		.amdhsa_float_round_mode_16_64 0
		.amdhsa_float_denorm_mode_32 3
		.amdhsa_float_denorm_mode_16_64 3
		.amdhsa_dx10_clamp 1
		.amdhsa_ieee_mode 1
		.amdhsa_fp16_overflow 0
		.amdhsa_workgroup_processor_mode 1
		.amdhsa_memory_ordered 1
		.amdhsa_forward_progress 0
		.amdhsa_shared_vgpr_count 0
		.amdhsa_exception_fp_ieee_invalid_op 0
		.amdhsa_exception_fp_denorm_src 0
		.amdhsa_exception_fp_ieee_div_zero 0
		.amdhsa_exception_fp_ieee_overflow 0
		.amdhsa_exception_fp_ieee_underflow 0
		.amdhsa_exception_fp_ieee_inexact 0
		.amdhsa_exception_int_div_zero 0
	.end_amdhsa_kernel
	.text
.Lfunc_end0:
	.size	_Z14_swiglu_scalarPK6__halfPKfPhPS_iii, .Lfunc_end0-_Z14_swiglu_scalarPK6__halfPKfPhPS_iii
                                        ; -- End function
	.section	.AMDGPU.csdata,"",@progbits
; Kernel info:
; codeLenInByte = 2544
; NumSgprs: 37
; NumVgprs: 18
; ScratchSize: 0
; MemoryBound: 0
; FloatMode: 240
; IeeeMode: 1
; LDSByteSize: 0 bytes/workgroup (compile time only)
; SGPRBlocks: 4
; VGPRBlocks: 2
; NumSGPRsForWavesPerEU: 37
; NumVGPRsForWavesPerEU: 18
; Occupancy: 16
; WaveLimiterHint : 0
; COMPUTE_PGM_RSRC2:SCRATCH_EN: 0
; COMPUTE_PGM_RSRC2:USER_SGPR: 15
; COMPUTE_PGM_RSRC2:TRAP_HANDLER: 0
; COMPUTE_PGM_RSRC2:TGID_X_EN: 1
; COMPUTE_PGM_RSRC2:TGID_Y_EN: 0
; COMPUTE_PGM_RSRC2:TGID_Z_EN: 0
; COMPUTE_PGM_RSRC2:TIDIG_COMP_CNT: 0
	.text
	.p2alignl 7, 3214868480
	.fill 96, 4, 3214868480
	.type	__hip_cuid_51bcc444c083b650,@object ; @__hip_cuid_51bcc444c083b650
	.section	.bss,"aw",@nobits
	.globl	__hip_cuid_51bcc444c083b650
__hip_cuid_51bcc444c083b650:
	.byte	0                               ; 0x0
	.size	__hip_cuid_51bcc444c083b650, 1

	.ident	"AMD clang version 19.0.0git (https://github.com/RadeonOpenCompute/llvm-project roc-6.4.0 25133 c7fe45cf4b819c5991fe208aaa96edf142730f1d)"
	.section	".note.GNU-stack","",@progbits
	.addrsig
	.addrsig_sym __hip_cuid_51bcc444c083b650
	.amdgpu_metadata
---
amdhsa.kernels:
  - .args:
      - .actual_access:  read_only
        .address_space:  global
        .offset:         0
        .size:           8
        .value_kind:     global_buffer
      - .actual_access:  read_only
        .address_space:  global
        .offset:         8
        .size:           8
        .value_kind:     global_buffer
      - .actual_access:  write_only
        .address_space:  global
        .offset:         16
        .size:           8
        .value_kind:     global_buffer
      - .actual_access:  write_only
        .address_space:  global
        .offset:         24
        .size:           8
        .value_kind:     global_buffer
      - .offset:         32
        .size:           4
        .value_kind:     by_value
      - .offset:         36
        .size:           4
        .value_kind:     by_value
      - .offset:         40
        .size:           4
        .value_kind:     by_value
      - .offset:         48
        .size:           4
        .value_kind:     hidden_block_count_x
      - .offset:         52
        .size:           4
        .value_kind:     hidden_block_count_y
      - .offset:         56
        .size:           4
        .value_kind:     hidden_block_count_z
      - .offset:         60
        .size:           2
        .value_kind:     hidden_group_size_x
      - .offset:         62
        .size:           2
        .value_kind:     hidden_group_size_y
      - .offset:         64
        .size:           2
        .value_kind:     hidden_group_size_z
      - .offset:         66
        .size:           2
        .value_kind:     hidden_remainder_x
      - .offset:         68
        .size:           2
        .value_kind:     hidden_remainder_y
      - .offset:         70
        .size:           2
        .value_kind:     hidden_remainder_z
      - .offset:         88
        .size:           8
        .value_kind:     hidden_global_offset_x
      - .offset:         96
        .size:           8
        .value_kind:     hidden_global_offset_y
      - .offset:         104
        .size:           8
        .value_kind:     hidden_global_offset_z
      - .offset:         112
        .size:           2
        .value_kind:     hidden_grid_dims
    .group_segment_fixed_size: 0
    .kernarg_segment_align: 8
    .kernarg_segment_size: 304
    .language:       OpenCL C
    .language_version:
      - 2
      - 0
    .max_flat_workgroup_size: 1024
    .name:           _Z14_swiglu_scalarPK6__halfPKfPhPS_iii
    .private_segment_fixed_size: 0
    .sgpr_count:     37
    .sgpr_spill_count: 0
    .symbol:         _Z14_swiglu_scalarPK6__halfPKfPhPS_iii.kd
    .uniform_work_group_size: 1
    .uses_dynamic_stack: false
    .vgpr_count:     18
    .vgpr_spill_count: 0
    .wavefront_size: 32
    .workgroup_processor_mode: 1
amdhsa.target:   amdgcn-amd-amdhsa--gfx1100
amdhsa.version:
  - 1
  - 2
...

	.end_amdgpu_metadata
